;; amdgpu-corpus repo=ROCm/rocFFT kind=compiled arch=gfx950 opt=O3
	.text
	.amdgcn_target "amdgcn-amd-amdhsa--gfx950"
	.amdhsa_code_object_version 6
	.protected	fft_rtc_back_len624_factors_13_4_6_2_wgs_52_tpt_52_dp_op_CI_CI_unitstride_sbrr_C2R_dirReg ; -- Begin function fft_rtc_back_len624_factors_13_4_6_2_wgs_52_tpt_52_dp_op_CI_CI_unitstride_sbrr_C2R_dirReg
	.globl	fft_rtc_back_len624_factors_13_4_6_2_wgs_52_tpt_52_dp_op_CI_CI_unitstride_sbrr_C2R_dirReg
	.p2align	8
	.type	fft_rtc_back_len624_factors_13_4_6_2_wgs_52_tpt_52_dp_op_CI_CI_unitstride_sbrr_C2R_dirReg,@function
fft_rtc_back_len624_factors_13_4_6_2_wgs_52_tpt_52_dp_op_CI_CI_unitstride_sbrr_C2R_dirReg: ; @fft_rtc_back_len624_factors_13_4_6_2_wgs_52_tpt_52_dp_op_CI_CI_unitstride_sbrr_C2R_dirReg
; %bb.0:
	s_load_dwordx4 s[4:7], s[0:1], 0x58
	s_load_dwordx4 s[8:11], s[0:1], 0x0
	;; [unrolled: 1-line block ×3, first 2 shown]
	v_mul_u32_u24_e32 v1, 0x4ed, v0
	v_add_u32_sdwa v6, s2, v1 dst_sel:DWORD dst_unused:UNUSED_PAD src0_sel:DWORD src1_sel:WORD_1
	v_mov_b32_e32 v4, 0
	s_waitcnt lgkmcnt(0)
	v_cmp_lt_u64_e64 s[2:3], s[10:11], 2
	v_mov_b32_e32 v7, v4
	s_and_b64 vcc, exec, s[2:3]
	v_mov_b64_e32 v[2:3], 0
	s_cbranch_vccnz .LBB0_8
; %bb.1:
	s_load_dwordx2 s[2:3], s[0:1], 0x10
	s_add_u32 s16, s14, 8
	s_addc_u32 s17, s15, 0
	s_add_u32 s18, s12, 8
	s_addc_u32 s19, s13, 0
	s_waitcnt lgkmcnt(0)
	s_add_u32 s20, s2, 8
	v_mov_b64_e32 v[2:3], 0
	s_addc_u32 s21, s3, 0
	s_mov_b64 s[22:23], 1
	v_mov_b64_e32 v[52:53], v[2:3]
.LBB0_2:                                ; =>This Inner Loop Header: Depth=1
	s_load_dwordx2 s[24:25], s[20:21], 0x0
                                        ; implicit-def: $vgpr54_vgpr55
	s_waitcnt lgkmcnt(0)
	v_or_b32_e32 v5, s25, v7
	v_cmp_ne_u64_e32 vcc, 0, v[4:5]
	s_and_saveexec_b64 s[2:3], vcc
	s_xor_b64 s[26:27], exec, s[2:3]
	s_cbranch_execz .LBB0_4
; %bb.3:                                ;   in Loop: Header=BB0_2 Depth=1
	v_cvt_f32_u32_e32 v1, s24
	v_cvt_f32_u32_e32 v5, s25
	s_sub_u32 s2, 0, s24
	s_subb_u32 s3, 0, s25
	v_fmac_f32_e32 v1, 0x4f800000, v5
	v_rcp_f32_e32 v1, v1
	s_nop 0
	v_mul_f32_e32 v1, 0x5f7ffffc, v1
	v_mul_f32_e32 v5, 0x2f800000, v1
	v_trunc_f32_e32 v5, v5
	v_fmac_f32_e32 v1, 0xcf800000, v5
	v_cvt_u32_f32_e32 v5, v5
	v_cvt_u32_f32_e32 v1, v1
	v_mul_lo_u32 v8, s2, v5
	v_mul_hi_u32 v10, s2, v1
	v_mul_lo_u32 v9, s3, v1
	v_add_u32_e32 v10, v10, v8
	v_mul_lo_u32 v12, s2, v1
	v_add_u32_e32 v13, v10, v9
	v_mul_hi_u32 v8, v1, v12
	v_mul_hi_u32 v11, v1, v13
	v_mul_lo_u32 v10, v1, v13
	v_mov_b32_e32 v9, v4
	v_lshl_add_u64 v[8:9], v[8:9], 0, v[10:11]
	v_mul_hi_u32 v11, v5, v12
	v_mul_lo_u32 v12, v5, v12
	v_add_co_u32_e32 v8, vcc, v8, v12
	v_mul_hi_u32 v10, v5, v13
	s_nop 0
	v_addc_co_u32_e32 v8, vcc, v9, v11, vcc
	v_mov_b32_e32 v9, v4
	s_nop 0
	v_addc_co_u32_e32 v11, vcc, 0, v10, vcc
	v_mul_lo_u32 v10, v5, v13
	v_lshl_add_u64 v[8:9], v[8:9], 0, v[10:11]
	v_add_co_u32_e32 v1, vcc, v1, v8
	v_mul_lo_u32 v10, s2, v1
	s_nop 0
	v_addc_co_u32_e32 v5, vcc, v5, v9, vcc
	v_mul_lo_u32 v8, s2, v5
	v_mul_hi_u32 v9, s2, v1
	v_add_u32_e32 v8, v9, v8
	v_mul_lo_u32 v9, s3, v1
	v_add_u32_e32 v12, v8, v9
	v_mul_hi_u32 v14, v5, v10
	v_mul_lo_u32 v15, v5, v10
	v_mul_hi_u32 v9, v1, v12
	v_mul_lo_u32 v8, v1, v12
	v_mul_hi_u32 v10, v1, v10
	v_mov_b32_e32 v11, v4
	v_lshl_add_u64 v[8:9], v[10:11], 0, v[8:9]
	v_add_co_u32_e32 v8, vcc, v8, v15
	v_mul_hi_u32 v13, v5, v12
	s_nop 0
	v_addc_co_u32_e32 v8, vcc, v9, v14, vcc
	v_mul_lo_u32 v10, v5, v12
	s_nop 0
	v_addc_co_u32_e32 v11, vcc, 0, v13, vcc
	v_mov_b32_e32 v9, v4
	v_lshl_add_u64 v[8:9], v[8:9], 0, v[10:11]
	v_add_co_u32_e32 v1, vcc, v1, v8
	v_mul_hi_u32 v10, v6, v1
	s_nop 0
	v_addc_co_u32_e32 v5, vcc, v5, v9, vcc
	v_mad_u64_u32 v[8:9], s[2:3], v6, v5, 0
	v_mov_b32_e32 v11, v4
	v_lshl_add_u64 v[8:9], v[10:11], 0, v[8:9]
	v_mad_u64_u32 v[12:13], s[2:3], v7, v1, 0
	v_add_co_u32_e32 v1, vcc, v8, v12
	v_mad_u64_u32 v[10:11], s[2:3], v7, v5, 0
	s_nop 0
	v_addc_co_u32_e32 v8, vcc, v9, v13, vcc
	v_mov_b32_e32 v9, v4
	s_nop 0
	v_addc_co_u32_e32 v11, vcc, 0, v11, vcc
	v_lshl_add_u64 v[8:9], v[8:9], 0, v[10:11]
	v_mul_lo_u32 v1, s25, v8
	v_mul_lo_u32 v5, s24, v9
	v_mad_u64_u32 v[10:11], s[2:3], s24, v8, 0
	v_add3_u32 v1, v11, v5, v1
	v_sub_u32_e32 v5, v7, v1
	v_mov_b32_e32 v11, s25
	v_sub_co_u32_e32 v14, vcc, v6, v10
	v_lshl_add_u64 v[12:13], v[8:9], 0, 1
	s_nop 0
	v_subb_co_u32_e64 v5, s[2:3], v5, v11, vcc
	v_subrev_co_u32_e64 v10, s[2:3], s24, v14
	v_subb_co_u32_e32 v1, vcc, v7, v1, vcc
	s_nop 0
	v_subbrev_co_u32_e64 v5, s[2:3], 0, v5, s[2:3]
	v_cmp_le_u32_e64 s[2:3], s25, v5
	v_cmp_le_u32_e32 vcc, s25, v1
	s_nop 0
	v_cndmask_b32_e64 v11, 0, -1, s[2:3]
	v_cmp_le_u32_e64 s[2:3], s24, v10
	s_nop 1
	v_cndmask_b32_e64 v10, 0, -1, s[2:3]
	v_cmp_eq_u32_e64 s[2:3], s25, v5
	s_nop 1
	v_cndmask_b32_e64 v5, v11, v10, s[2:3]
	v_lshl_add_u64 v[10:11], v[8:9], 0, 2
	v_cmp_ne_u32_e64 s[2:3], 0, v5
	s_nop 1
	v_cndmask_b32_e64 v5, v13, v11, s[2:3]
	v_cndmask_b32_e64 v11, 0, -1, vcc
	v_cmp_le_u32_e32 vcc, s24, v14
	s_nop 1
	v_cndmask_b32_e64 v13, 0, -1, vcc
	v_cmp_eq_u32_e32 vcc, s25, v1
	s_nop 1
	v_cndmask_b32_e32 v1, v11, v13, vcc
	v_cmp_ne_u32_e32 vcc, 0, v1
	v_cndmask_b32_e64 v1, v12, v10, s[2:3]
	s_nop 0
	v_cndmask_b32_e32 v55, v9, v5, vcc
	v_cndmask_b32_e32 v54, v8, v1, vcc
.LBB0_4:                                ;   in Loop: Header=BB0_2 Depth=1
	s_andn2_saveexec_b64 s[2:3], s[26:27]
	s_cbranch_execz .LBB0_6
; %bb.5:                                ;   in Loop: Header=BB0_2 Depth=1
	v_cvt_f32_u32_e32 v1, s24
	s_sub_i32 s26, 0, s24
	v_mov_b32_e32 v55, v4
	v_rcp_iflag_f32_e32 v1, v1
	s_nop 0
	v_mul_f32_e32 v1, 0x4f7ffffe, v1
	v_cvt_u32_f32_e32 v1, v1
	v_mul_lo_u32 v5, s26, v1
	v_mul_hi_u32 v5, v1, v5
	v_add_u32_e32 v1, v1, v5
	v_mul_hi_u32 v1, v6, v1
	v_mul_lo_u32 v5, v1, s24
	v_sub_u32_e32 v5, v6, v5
	v_add_u32_e32 v8, 1, v1
	v_subrev_u32_e32 v9, s24, v5
	v_cmp_le_u32_e32 vcc, s24, v5
	s_nop 1
	v_cndmask_b32_e32 v5, v5, v9, vcc
	v_cndmask_b32_e32 v1, v1, v8, vcc
	v_add_u32_e32 v8, 1, v1
	v_cmp_le_u32_e32 vcc, s24, v5
	s_nop 1
	v_cndmask_b32_e32 v54, v1, v8, vcc
.LBB0_6:                                ;   in Loop: Header=BB0_2 Depth=1
	s_or_b64 exec, exec, s[2:3]
	v_mad_u64_u32 v[8:9], s[2:3], v54, s24, 0
	s_load_dwordx2 s[2:3], s[18:19], 0x0
	v_mul_lo_u32 v1, v55, s24
	v_mul_lo_u32 v5, v54, s25
	s_load_dwordx2 s[24:25], s[16:17], 0x0
	s_add_u32 s22, s22, 1
	v_add3_u32 v1, v9, v5, v1
	v_sub_co_u32_e32 v5, vcc, v6, v8
	s_addc_u32 s23, s23, 0
	s_nop 0
	v_subb_co_u32_e32 v1, vcc, v7, v1, vcc
	s_add_u32 s16, s16, 8
	s_waitcnt lgkmcnt(0)
	v_mul_lo_u32 v6, s2, v1
	v_mul_lo_u32 v7, s3, v5
	v_mad_u64_u32 v[2:3], s[2:3], s2, v5, v[2:3]
	s_addc_u32 s17, s17, 0
	v_add3_u32 v3, v7, v3, v6
	v_mul_lo_u32 v1, s24, v1
	v_mul_lo_u32 v6, s25, v5
	v_mad_u64_u32 v[52:53], s[2:3], s24, v5, v[52:53]
	s_add_u32 s18, s18, 8
	v_add3_u32 v53, v6, v53, v1
	s_addc_u32 s19, s19, 0
	v_mov_b64_e32 v[6:7], s[10:11]
	s_add_u32 s20, s20, 8
	v_cmp_ge_u64_e32 vcc, s[22:23], v[6:7]
	s_addc_u32 s21, s21, 0
	s_cbranch_vccnz .LBB0_9
; %bb.7:                                ;   in Loop: Header=BB0_2 Depth=1
	v_mov_b64_e32 v[6:7], v[54:55]
	s_branch .LBB0_2
.LBB0_8:
	v_mov_b64_e32 v[52:53], v[2:3]
	v_mov_b64_e32 v[54:55], v[6:7]
.LBB0_9:
	s_load_dwordx2 s[18:19], s[0:1], 0x28
	s_lshl_b64 s[16:17], s[10:11], 3
	s_add_u32 s2, s14, s16
	s_addc_u32 s3, s15, s17
                                        ; implicit-def: $vgpr56
                                        ; implicit-def: $vgpr58_vgpr59
	s_waitcnt lgkmcnt(0)
	v_cmp_gt_u64_e64 s[0:1], s[18:19], v[54:55]
	v_cmp_le_u64_e32 vcc, s[18:19], v[54:55]
	s_and_saveexec_b64 s[10:11], vcc
	s_xor_b64 s[10:11], exec, s[10:11]
; %bb.10:
	s_mov_b32 s14, 0x4ec4ec5
	v_mul_hi_u32 v1, v0, s14
	v_mul_u32_u24_e32 v1, 52, v1
	v_sub_u32_e32 v56, v0, v1
	v_mov_b32_e32 v57, 0
	v_mov_b64_e32 v[58:59], v[56:57]
                                        ; implicit-def: $vgpr0
                                        ; implicit-def: $vgpr2_vgpr3
; %bb.11:
	s_or_saveexec_b64 s[10:11], s[10:11]
	s_load_dwordx2 s[2:3], s[2:3], 0x0
	s_xor_b64 exec, exec, s[10:11]
	s_cbranch_execz .LBB0_15
; %bb.12:
	s_add_u32 s12, s12, s16
	s_addc_u32 s13, s13, s17
	s_load_dwordx2 s[12:13], s[12:13], 0x0
	s_mov_b32 s14, 0x4ec4ec5
	v_mov_b32_e32 v57, 0
	v_mov_b32_e32 v51, v57
	s_waitcnt lgkmcnt(0)
	v_mul_lo_u32 v1, s13, v54
	v_mul_lo_u32 v6, s12, v55
	v_mad_u64_u32 v[4:5], s[12:13], s12, v54, 0
	v_add3_u32 v5, v5, v6, v1
	v_mul_hi_u32 v1, v0, s14
	v_mul_u32_u24_e32 v1, 52, v1
	v_sub_u32_e32 v56, v0, v1
	v_lshl_add_u64 v[0:1], v[4:5], 4, s[4:5]
	v_lshl_add_u64 v[0:1], v[2:3], 4, v[0:1]
	v_lshlrev_b32_e32 v50, 4, v56
	v_lshl_add_u64 v[42:43], v[0:1], 0, v[50:51]
	s_movk_i32 s4, 0x1000
	v_add_co_u32_e32 v44, vcc, s4, v42
	global_load_dwordx4 v[2:5], v[42:43], off
	global_load_dwordx4 v[6:9], v[42:43], off offset:832
	global_load_dwordx4 v[10:13], v[42:43], off offset:1664
	;; [unrolled: 1-line block ×3, first 2 shown]
	v_addc_co_u32_e32 v45, vcc, 0, v43, vcc
	v_add_co_u32_e32 v58, vcc, 0x2000, v42
	global_load_dwordx4 v[18:21], v[42:43], off offset:3328
	global_load_dwordx4 v[22:25], v[44:45], off offset:64
	;; [unrolled: 1-line block ×6, first 2 shown]
	v_addc_co_u32_e32 v59, vcc, 0, v43, vcc
	global_load_dwordx4 v[42:45], v[58:59], off offset:128
	global_load_dwordx4 v[46:49], v[58:59], off offset:960
	v_cmp_eq_u32_e32 vcc, 51, v56
	v_add_u32_e32 v50, 0, v50
	v_mov_b64_e32 v[58:59], v[56:57]
	s_waitcnt vmcnt(11)
	ds_write_b128 v50, v[2:5]
	s_waitcnt vmcnt(10)
	ds_write_b128 v50, v[6:9] offset:832
	s_waitcnt vmcnt(9)
	ds_write_b128 v50, v[10:13] offset:1664
	;; [unrolled: 2-line block ×11, first 2 shown]
	s_and_saveexec_b64 s[4:5], vcc
	s_cbranch_execz .LBB0_14
; %bb.13:
	v_add_co_u32_e32 v0, vcc, 0x2000, v0
	v_mov_b32_e32 v56, 51
	s_nop 0
	v_addc_co_u32_e32 v1, vcc, 0, v1, vcc
	global_load_dwordx4 v[0:3], v[0:1], off offset:1792
	v_mov_b64_e32 v[58:59], 51
	s_waitcnt vmcnt(0)
	ds_write_b128 v57, v[0:3] offset:9984
.LBB0_14:
	s_or_b64 exec, exec, s[4:5]
.LBB0_15:
	s_or_b64 exec, exec, s[10:11]
	v_lshlrev_b32_e32 v0, 4, v56
	v_add_u32_e32 v84, 0, v0
	s_waitcnt lgkmcnt(0)
	; wave barrier
	s_waitcnt lgkmcnt(0)
	v_sub_u32_e32 v8, 0, v0
	ds_read_b64 v[4:5], v84
	ds_read_b64 v[6:7], v8 offset:9984
	s_add_u32 s4, s8, 0x2630
	s_addc_u32 s5, s9, 0
	v_cmp_ne_u32_e32 vcc, 0, v56
	s_waitcnt lgkmcnt(0)
	v_add_f64 v[0:1], v[4:5], v[6:7]
	v_add_f64 v[2:3], v[4:5], -v[6:7]
	s_and_saveexec_b64 s[10:11], vcc
	s_xor_b64 s[10:11], exec, s[10:11]
	s_cbranch_execz .LBB0_17
; %bb.16:
	v_lshl_add_u64 v[0:1], v[58:59], 4, s[4:5]
	global_load_dwordx4 v[10:13], v[0:1], off
	ds_read_b64 v[0:1], v8 offset:9992
	ds_read_b64 v[2:3], v84 offset:8
	v_add_f64 v[14:15], v[4:5], v[6:7]
	v_add_f64 v[16:17], v[4:5], -v[6:7]
	s_waitcnt lgkmcnt(0)
	v_add_f64 v[18:19], v[0:1], v[2:3]
	v_add_f64 v[0:1], v[2:3], -v[0:1]
	s_waitcnt vmcnt(0)
	v_fma_f64 v[4:5], -v[16:17], v[12:13], v[14:15]
	v_fma_f64 v[6:7], v[18:19], v[12:13], -v[0:1]
	v_fma_f64 v[20:21], v[16:17], v[12:13], v[14:15]
	v_fma_f64 v[2:3], v[18:19], v[12:13], v[0:1]
	v_fmac_f64_e32 v[4:5], v[18:19], v[10:11]
	v_fmac_f64_e32 v[6:7], v[16:17], v[10:11]
	v_fma_f64 v[0:1], -v[18:19], v[10:11], v[20:21]
	v_fmac_f64_e32 v[2:3], v[16:17], v[10:11]
	ds_write_b128 v8, v[4:7] offset:9984
.LBB0_17:
	s_andn2_saveexec_b64 s[10:11], s[10:11]
	s_cbranch_execz .LBB0_19
; %bb.18:
	v_mov_b32_e32 v9, 0
	ds_read_b128 v[4:7], v9 offset:4992
	s_waitcnt lgkmcnt(0)
	v_add_f64 v[4:5], v[4:5], v[4:5]
	v_mul_f64 v[6:7], v[6:7], -2.0
	ds_write_b128 v9, v[4:7] offset:4992
.LBB0_19:
	s_or_b64 exec, exec, s[10:11]
	v_mov_b32_e32 v57, 0
	v_lshl_add_u64 v[26:27], v[56:57], 4, s[4:5]
	global_load_dwordx4 v[4:7], v[26:27], off offset:832
	global_load_dwordx4 v[10:13], v[26:27], off offset:1664
	;; [unrolled: 1-line block ×4, first 2 shown]
	s_movk_i32 s33, 0x1000
	v_add_co_u32_e32 v26, vcc, s33, v26
	ds_write_b128 v84, v[0:3]
	s_nop 0
	v_addc_co_u32_e32 v27, vcc, 0, v27, vcc
	ds_read_b128 v[0:3], v84 offset:832
	ds_read_b128 v[22:25], v8 offset:9152
	global_load_dwordx4 v[26:29], v[26:27], off offset:64
	v_cmp_gt_u32_e32 vcc, 48, v56
	s_waitcnt lgkmcnt(0)
	v_add_f64 v[30:31], v[0:1], v[22:23]
	v_add_f64 v[32:33], v[24:25], v[2:3]
	v_add_f64 v[34:35], v[0:1], -v[22:23]
	v_add_f64 v[0:1], v[2:3], -v[24:25]
	s_waitcnt vmcnt(4)
	v_fma_f64 v[36:37], v[34:35], v[6:7], v[30:31]
	v_fma_f64 v[2:3], v[32:33], v[6:7], v[0:1]
	v_fma_f64 v[22:23], -v[34:35], v[6:7], v[30:31]
	v_fma_f64 v[24:25], v[32:33], v[6:7], -v[0:1]
	v_fma_f64 v[0:1], -v[32:33], v[4:5], v[36:37]
	v_fmac_f64_e32 v[2:3], v[34:35], v[4:5]
	v_fmac_f64_e32 v[22:23], v[32:33], v[4:5]
	v_fmac_f64_e32 v[24:25], v[34:35], v[4:5]
	ds_write_b128 v84, v[0:3] offset:832
	ds_write_b128 v8, v[22:25] offset:9152
	ds_read_b128 v[0:3], v84 offset:1664
	ds_read_b128 v[4:7], v8 offset:8320
	s_waitcnt lgkmcnt(0)
	v_add_f64 v[22:23], v[0:1], v[4:5]
	v_add_f64 v[24:25], v[6:7], v[2:3]
	v_add_f64 v[30:31], v[0:1], -v[4:5]
	v_add_f64 v[0:1], v[2:3], -v[6:7]
	s_waitcnt vmcnt(3)
	v_fma_f64 v[32:33], v[30:31], v[12:13], v[22:23]
	v_fma_f64 v[2:3], v[24:25], v[12:13], v[0:1]
	v_fma_f64 v[4:5], -v[30:31], v[12:13], v[22:23]
	v_fma_f64 v[6:7], v[24:25], v[12:13], -v[0:1]
	v_fma_f64 v[0:1], -v[24:25], v[10:11], v[32:33]
	v_fmac_f64_e32 v[2:3], v[30:31], v[10:11]
	v_fmac_f64_e32 v[4:5], v[24:25], v[10:11]
	v_fmac_f64_e32 v[6:7], v[30:31], v[10:11]
	ds_write_b128 v84, v[0:3] offset:1664
	ds_write_b128 v8, v[4:7] offset:8320
	ds_read_b128 v[0:3], v84 offset:2496
	ds_read_b128 v[4:7], v8 offset:7488
	;; [unrolled: 18-line block ×4, first 2 shown]
	s_waitcnt lgkmcnt(0)
	v_add_f64 v[10:11], v[0:1], v[4:5]
	v_add_f64 v[12:13], v[6:7], v[2:3]
	v_add_f64 v[14:15], v[0:1], -v[4:5]
	v_add_f64 v[0:1], v[2:3], -v[6:7]
	s_waitcnt vmcnt(0)
	v_fma_f64 v[16:17], v[14:15], v[28:29], v[10:11]
	v_fma_f64 v[2:3], v[12:13], v[28:29], v[0:1]
	v_fma_f64 v[4:5], -v[14:15], v[28:29], v[10:11]
	v_fma_f64 v[6:7], v[12:13], v[28:29], -v[0:1]
	v_fma_f64 v[0:1], -v[12:13], v[26:27], v[16:17]
	v_fmac_f64_e32 v[2:3], v[14:15], v[26:27]
	v_fmac_f64_e32 v[4:5], v[12:13], v[26:27]
	;; [unrolled: 1-line block ×3, first 2 shown]
	ds_write_b128 v84, v[0:3] offset:4160
	ds_write_b128 v8, v[4:7] offset:5824
	s_waitcnt lgkmcnt(0)
	; wave barrier
	s_waitcnt lgkmcnt(0)
	s_waitcnt lgkmcnt(0)
	; wave barrier
	s_waitcnt lgkmcnt(0)
	ds_read_b128 v[0:3], v84
	ds_read_b128 v[4:7], v84 offset:768
	ds_read_b128 v[8:11], v84 offset:1536
	ds_read_b128 v[16:19], v84 offset:2304
	ds_read_b128 v[28:31], v84 offset:3072
	ds_read_b128 v[36:39], v84 offset:3840
	ds_read_b128 v[48:51], v84 offset:4608
	ds_read_b128 v[44:47], v84 offset:5376
	ds_read_b128 v[40:43], v84 offset:6144
	ds_read_b128 v[32:35], v84 offset:6912
	ds_read_b128 v[24:27], v84 offset:7680
	ds_read_b128 v[20:23], v84 offset:8448
	ds_read_b128 v[12:15], v84 offset:9216
	s_waitcnt lgkmcnt(0)
	; wave barrier
	s_waitcnt lgkmcnt(0)
	s_and_saveexec_b64 s[4:5], vcc
	s_cbranch_execz .LBB0_21
; %bb.20:
	v_add_f64 v[60:61], v[2:3], v[6:7]
	v_add_f64 v[60:61], v[60:61], v[10:11]
	;; [unrolled: 1-line block ×14, first 2 shown]
	v_add_f64 v[64:65], v[36:37], -v[40:41]
	v_add_f64 v[36:37], v[36:37], v[40:41]
	v_add_f64 v[40:41], v[66:67], v[40:41]
	;; [unrolled: 1-line block ×3, first 2 shown]
	v_add_f64 v[72:73], v[28:29], -v[32:33]
	v_add_f64 v[28:29], v[28:29], v[32:33]
	v_add_f64 v[32:33], v[40:41], v[32:33]
	v_add_f64 v[62:63], v[48:49], -v[44:45]
	v_add_f64 v[60:61], v[50:51], v[46:47]
	v_add_f64 v[48:49], v[48:49], v[44:45]
	v_add_f64 v[50:51], v[50:51], -v[46:47]
	v_add_f64 v[44:45], v[38:39], v[42:43]
	v_add_f64 v[46:47], v[38:39], -v[42:43]
	;; [unrolled: 2-line block ×3, first 2 shown]
	v_add_f64 v[66:67], v[68:69], v[34:35]
	v_add_f64 v[34:35], v[18:19], v[26:27]
	v_add_f64 v[70:71], v[18:19], -v[26:27]
	v_add_f64 v[18:19], v[32:33], v[24:25]
	s_mov_b32 s18, 0x4bc48dbf
	v_add_f64 v[74:75], v[16:17], -v[24:25]
	v_add_f64 v[30:31], v[16:17], v[24:25]
	v_add_f64 v[16:17], v[66:67], v[26:27]
	;; [unrolled: 1-line block ×3, first 2 shown]
	v_add_f64 v[76:77], v[10:11], -v[22:23]
	v_add_f64 v[10:11], v[18:19], v[20:21]
	v_add_f64 v[82:83], v[4:5], -v[12:13]
	s_mov_b32 s19, 0xbfcea1e5
	s_mov_b32 s10, 0x93053d00
	v_add_f64 v[80:81], v[8:9], -v[20:21]
	v_add_f64 v[32:33], v[8:9], v[20:21]
	v_add_f64 v[8:9], v[16:17], v[22:23]
	;; [unrolled: 1-line block ×5, first 2 shown]
	s_mov_b32 s25, 0x3fddbe06
	s_mov_b32 s24, 0x4267c47c
	;; [unrolled: 1-line block ×4, first 2 shown]
	v_mul_f64 v[12:13], v[82:83], s[18:19]
	s_mov_b32 s22, 0x24c2f84
	v_add_f64 v[78:79], v[6:7], -v[14:15]
	v_add_f64 v[6:7], v[8:9], v[14:15]
	s_mov_b32 s17, 0x3fec55a7
	v_fma_f64 v[8:9], s[10:11], v[66:67], v[12:13]
	v_mul_f64 v[14:15], v[80:81], s[24:25]
	s_mov_b32 s23, 0xbfe5384d
	s_mov_b32 s12, 0xd0032e0c
	;; [unrolled: 1-line block ×3, first 2 shown]
	v_add_f64 v[8:9], v[2:3], v[8:9]
	v_fma_f64 v[10:11], s[16:17], v[40:41], v[14:15]
	s_mov_b32 s13, 0xbfe7f3cc
	v_mul_f64 v[16:17], v[74:75], s[22:23]
	s_mov_b32 s39, 0x3fea55e2
	s_mov_b32 s14, 0x1ea71119
	;; [unrolled: 1-line block ×3, first 2 shown]
	v_add_f64 v[8:9], v[10:11], v[8:9]
	v_fma_f64 v[10:11], s[12:13], v[34:35], v[16:17]
	s_mov_b32 s15, 0x3fe22d96
	v_mul_f64 v[18:19], v[72:73], s[38:39]
	s_mov_b32 s29, 0xbfedeba7
	s_mov_b32 s20, 0xb2365da1
	v_add_f64 v[8:9], v[10:11], v[8:9]
	v_fma_f64 v[10:11], s[14:15], v[38:39], v[18:19]
	s_mov_b32 s21, 0xbfd6b1d8
	v_mul_f64 v[20:21], v[64:65], s[28:29]
	v_add_f64 v[8:9], v[10:11], v[8:9]
	v_fma_f64 v[10:11], s[20:21], v[44:45], v[20:21]
	v_mul_f64 v[22:23], v[78:79], s[18:19]
	v_add_f64 v[8:9], v[10:11], v[8:9]
	v_fma_f64 v[10:11], v[68:69], s[10:11], -v[22:23]
	v_mul_f64 v[24:25], v[76:77], s[24:25]
	v_fma_f64 v[12:13], v[66:67], s[10:11], -v[12:13]
	v_add_f64 v[10:11], v[0:1], v[10:11]
	v_fma_f64 v[26:27], v[32:33], s[16:17], -v[24:25]
	v_fma_f64 v[14:15], v[40:41], s[16:17], -v[14:15]
	v_add_f64 v[12:13], v[2:3], v[12:13]
	v_add_f64 v[10:11], v[26:27], v[10:11]
	v_mul_f64 v[26:27], v[70:71], s[22:23]
	v_add_f64 v[12:13], v[14:15], v[12:13]
	v_fma_f64 v[14:15], v[34:35], s[12:13], -v[16:17]
	v_fma_f64 v[86:87], v[30:31], s[12:13], -v[26:27]
	v_add_f64 v[12:13], v[14:15], v[12:13]
	v_fma_f64 v[14:15], v[38:39], s[14:15], -v[18:19]
	v_add_f64 v[10:11], v[86:87], v[10:11]
	v_mul_f64 v[86:87], v[42:43], s[38:39]
	v_add_f64 v[12:13], v[14:15], v[12:13]
	v_fma_f64 v[14:15], v[44:45], s[20:21], -v[20:21]
	v_fmac_f64_e32 v[22:23], s[10:11], v[68:69]
	v_fma_f64 v[88:89], v[28:29], s[14:15], -v[86:87]
	s_mov_b32 s34, 0x66966769
	v_add_f64 v[12:13], v[14:15], v[12:13]
	v_fmac_f64_e32 v[24:25], s[16:17], v[32:33]
	v_add_f64 v[14:15], v[0:1], v[22:23]
	v_add_f64 v[10:11], v[88:89], v[10:11]
	v_mul_f64 v[88:89], v[46:47], s[28:29]
	s_mov_b32 s35, 0x3fefc445
	s_mov_b32 s26, 0xebaa3ed8
	v_add_f64 v[14:15], v[24:25], v[14:15]
	v_fmac_f64_e32 v[26:27], s[12:13], v[30:31]
	v_fma_f64 v[90:91], v[36:37], s[20:21], -v[88:89]
	s_mov_b32 s27, 0x3fbedb7d
	v_mul_f64 v[92:93], v[62:63], s[34:35]
	v_add_f64 v[14:15], v[26:27], v[14:15]
	v_fmac_f64_e32 v[86:87], s[14:15], v[28:29]
	v_add_f64 v[90:91], v[90:91], v[10:11]
	v_fma_f64 v[10:11], s[26:27], v[60:61], v[92:93]
	v_mul_f64 v[94:95], v[50:51], s[34:35]
	v_add_f64 v[14:15], v[86:87], v[14:15]
	v_fmac_f64_e32 v[88:89], s[20:21], v[36:37]
	v_add_f64 v[10:11], v[10:11], v[8:9]
	v_fma_f64 v[8:9], v[48:49], s[26:27], -v[94:95]
	v_add_f64 v[16:17], v[88:89], v[14:15]
	v_fma_f64 v[14:15], v[60:61], s[26:27], -v[92:93]
	v_fmac_f64_e32 v[94:95], s[26:27], v[48:49]
	v_mul_f64 v[20:21], v[82:83], s[22:23]
	v_add_f64 v[14:15], v[14:15], v[12:13]
	v_add_f64 v[12:13], v[94:95], v[16:17]
	v_fma_f64 v[16:17], s[12:13], v[66:67], v[20:21]
	v_mul_f64 v[22:23], v[80:81], s[34:35]
	s_mov_b32 s31, 0xbfea55e2
	s_mov_b32 s30, s38
	v_add_f64 v[16:17], v[2:3], v[16:17]
	v_fma_f64 v[18:19], s[26:27], v[40:41], v[22:23]
	v_mul_f64 v[24:25], v[74:75], s[30:31]
	s_mov_b32 s43, 0x3fcea1e5
	s_mov_b32 s42, s18
	v_add_f64 v[16:17], v[18:19], v[16:17]
	v_fma_f64 v[18:19], s[14:15], v[34:35], v[24:25]
	v_mul_f64 v[26:27], v[72:73], s[42:43]
	v_add_f64 v[16:17], v[18:19], v[16:17]
	v_fma_f64 v[18:19], s[10:11], v[38:39], v[26:27]
	v_mul_f64 v[86:87], v[64:65], s[24:25]
	;; [unrolled: 3-line block ×3, first 2 shown]
	v_add_f64 v[8:9], v[8:9], v[90:91]
	v_add_f64 v[16:17], v[18:19], v[16:17]
	v_fma_f64 v[18:19], v[68:69], s[12:13], -v[88:89]
	v_mul_f64 v[90:91], v[76:77], s[34:35]
	v_fma_f64 v[20:21], v[66:67], s[12:13], -v[20:21]
	v_add_f64 v[18:19], v[0:1], v[18:19]
	v_fma_f64 v[92:93], v[32:33], s[26:27], -v[90:91]
	v_fma_f64 v[22:23], v[40:41], s[26:27], -v[22:23]
	v_add_f64 v[20:21], v[2:3], v[20:21]
	v_add_f64 v[18:19], v[92:93], v[18:19]
	v_mul_f64 v[92:93], v[70:71], s[30:31]
	v_add_f64 v[20:21], v[22:23], v[20:21]
	v_fma_f64 v[22:23], v[34:35], s[14:15], -v[24:25]
	v_fma_f64 v[94:95], v[30:31], s[14:15], -v[92:93]
	v_add_f64 v[20:21], v[22:23], v[20:21]
	v_fma_f64 v[22:23], v[38:39], s[10:11], -v[26:27]
	v_add_f64 v[18:19], v[94:95], v[18:19]
	v_mul_f64 v[94:95], v[42:43], s[42:43]
	v_add_f64 v[20:21], v[22:23], v[20:21]
	v_fma_f64 v[22:23], v[44:45], s[16:17], -v[86:87]
	v_fmac_f64_e32 v[88:89], s[12:13], v[68:69]
	v_fma_f64 v[96:97], v[28:29], s[10:11], -v[94:95]
	v_add_f64 v[20:21], v[22:23], v[20:21]
	v_fmac_f64_e32 v[90:91], s[26:27], v[32:33]
	v_add_f64 v[22:23], v[0:1], v[88:89]
	v_add_f64 v[18:19], v[96:97], v[18:19]
	v_mul_f64 v[96:97], v[46:47], s[24:25]
	v_add_f64 v[22:23], v[90:91], v[22:23]
	v_fmac_f64_e32 v[92:93], s[14:15], v[30:31]
	v_fma_f64 v[98:99], v[36:37], s[16:17], -v[96:97]
	v_mul_f64 v[100:101], v[62:63], s[28:29]
	v_add_f64 v[22:23], v[92:93], v[22:23]
	v_fmac_f64_e32 v[94:95], s[10:11], v[28:29]
	v_add_f64 v[98:99], v[98:99], v[18:19]
	v_fma_f64 v[18:19], s[20:21], v[60:61], v[100:101]
	v_mul_f64 v[102:103], v[50:51], s[28:29]
	v_add_f64 v[22:23], v[94:95], v[22:23]
	v_fmac_f64_e32 v[96:97], s[16:17], v[36:37]
	v_add_f64 v[18:19], v[18:19], v[16:17]
	v_fma_f64 v[16:17], v[48:49], s[20:21], -v[102:103]
	v_add_f64 v[24:25], v[96:97], v[22:23]
	v_fma_f64 v[22:23], v[60:61], s[20:21], -v[100:101]
	v_fmac_f64_e32 v[102:103], s[20:21], v[48:49]
	s_mov_b32 s41, 0x3fe5384d
	s_mov_b32 s40, s22
	v_mul_f64 v[86:87], v[82:83], s[28:29]
	v_add_f64 v[22:23], v[22:23], v[20:21]
	v_add_f64 v[20:21], v[102:103], v[24:25]
	v_fma_f64 v[24:25], s[20:21], v[66:67], v[86:87]
	v_mul_f64 v[88:89], v[80:81], s[40:41]
	v_add_f64 v[24:25], v[2:3], v[24:25]
	v_fma_f64 v[26:27], s[12:13], v[40:41], v[88:89]
	v_mul_f64 v[90:91], v[74:75], s[24:25]
	s_mov_b32 s37, 0xbfefc445
	s_mov_b32 s36, s34
	v_add_f64 v[24:25], v[26:27], v[24:25]
	v_fma_f64 v[26:27], s[16:17], v[34:35], v[90:91]
	v_mul_f64 v[92:93], v[72:73], s[36:37]
	v_add_f64 v[24:25], v[26:27], v[24:25]
	v_fma_f64 v[26:27], s[26:27], v[38:39], v[92:93]
	v_mul_f64 v[94:95], v[64:65], s[42:43]
	v_add_f64 v[24:25], v[26:27], v[24:25]
	v_fma_f64 v[26:27], s[10:11], v[44:45], v[94:95]
	v_mul_f64 v[96:97], v[78:79], s[28:29]
	v_add_f64 v[16:17], v[16:17], v[98:99]
	v_add_f64 v[24:25], v[26:27], v[24:25]
	v_fma_f64 v[26:27], v[68:69], s[20:21], -v[96:97]
	v_mul_f64 v[98:99], v[76:77], s[40:41]
	v_fma_f64 v[86:87], v[66:67], s[20:21], -v[86:87]
	v_add_f64 v[26:27], v[0:1], v[26:27]
	v_fma_f64 v[100:101], v[32:33], s[12:13], -v[98:99]
	v_fma_f64 v[88:89], v[40:41], s[12:13], -v[88:89]
	v_add_f64 v[86:87], v[2:3], v[86:87]
	v_add_f64 v[26:27], v[100:101], v[26:27]
	v_mul_f64 v[100:101], v[70:71], s[24:25]
	v_add_f64 v[86:87], v[88:89], v[86:87]
	v_fma_f64 v[88:89], v[34:35], s[16:17], -v[90:91]
	v_fma_f64 v[102:103], v[30:31], s[16:17], -v[100:101]
	v_add_f64 v[86:87], v[88:89], v[86:87]
	v_fma_f64 v[88:89], v[38:39], s[26:27], -v[92:93]
	v_add_f64 v[26:27], v[102:103], v[26:27]
	v_mul_f64 v[102:103], v[42:43], s[36:37]
	v_add_f64 v[86:87], v[88:89], v[86:87]
	v_fma_f64 v[88:89], v[44:45], s[10:11], -v[94:95]
	v_fmac_f64_e32 v[96:97], s[20:21], v[68:69]
	v_fma_f64 v[104:105], v[28:29], s[26:27], -v[102:103]
	v_add_f64 v[86:87], v[88:89], v[86:87]
	v_fmac_f64_e32 v[98:99], s[12:13], v[32:33]
	v_add_f64 v[88:89], v[0:1], v[96:97]
	v_add_f64 v[26:27], v[104:105], v[26:27]
	v_mul_f64 v[104:105], v[46:47], s[42:43]
	v_add_f64 v[88:89], v[98:99], v[88:89]
	v_fmac_f64_e32 v[100:101], s[16:17], v[30:31]
	v_fma_f64 v[106:107], v[36:37], s[10:11], -v[104:105]
	v_mul_f64 v[108:109], v[62:63], s[38:39]
	v_add_f64 v[88:89], v[100:101], v[88:89]
	v_fmac_f64_e32 v[102:103], s[26:27], v[28:29]
	v_add_f64 v[106:107], v[106:107], v[26:27]
	v_fma_f64 v[26:27], s[14:15], v[60:61], v[108:109]
	v_mul_f64 v[110:111], v[50:51], s[38:39]
	v_add_f64 v[88:89], v[102:103], v[88:89]
	v_fmac_f64_e32 v[104:105], s[10:11], v[36:37]
	v_add_f64 v[26:27], v[26:27], v[24:25]
	v_fma_f64 v[24:25], v[48:49], s[14:15], -v[110:111]
	v_add_f64 v[90:91], v[104:105], v[88:89]
	v_fma_f64 v[88:89], v[60:61], s[14:15], -v[108:109]
	v_fmac_f64_e32 v[110:111], s[14:15], v[48:49]
	v_mul_f64 v[94:95], v[82:83], s[36:37]
	v_add_f64 v[88:89], v[88:89], v[86:87]
	v_add_f64 v[86:87], v[110:111], v[90:91]
	v_fma_f64 v[90:91], s[26:27], v[66:67], v[94:95]
	v_mul_f64 v[96:97], v[80:81], s[18:19]
	s_mov_b32 s39, 0x3fedeba7
	s_mov_b32 s38, s28
	v_add_f64 v[90:91], v[2:3], v[90:91]
	v_fma_f64 v[92:93], s[10:11], v[40:41], v[96:97]
	v_mul_f64 v[98:99], v[74:75], s[38:39]
	v_add_f64 v[90:91], v[92:93], v[90:91]
	v_fma_f64 v[92:93], s[20:21], v[34:35], v[98:99]
	v_mul_f64 v[100:101], v[72:73], s[24:25]
	;; [unrolled: 3-line block ×4, first 2 shown]
	v_add_f64 v[24:25], v[24:25], v[106:107]
	v_add_f64 v[90:91], v[92:93], v[90:91]
	v_fma_f64 v[92:93], v[68:69], s[26:27], -v[104:105]
	v_mul_f64 v[106:107], v[76:77], s[18:19]
	v_fma_f64 v[94:95], v[66:67], s[26:27], -v[94:95]
	v_add_f64 v[92:93], v[0:1], v[92:93]
	v_fma_f64 v[108:109], v[32:33], s[10:11], -v[106:107]
	v_fma_f64 v[96:97], v[40:41], s[10:11], -v[96:97]
	v_add_f64 v[94:95], v[2:3], v[94:95]
	v_add_f64 v[92:93], v[108:109], v[92:93]
	v_mul_f64 v[108:109], v[70:71], s[38:39]
	v_add_f64 v[94:95], v[96:97], v[94:95]
	v_fma_f64 v[96:97], v[34:35], s[20:21], -v[98:99]
	v_fma_f64 v[110:111], v[30:31], s[20:21], -v[108:109]
	v_add_f64 v[94:95], v[96:97], v[94:95]
	v_fma_f64 v[96:97], v[38:39], s[16:17], -v[100:101]
	v_add_f64 v[92:93], v[110:111], v[92:93]
	v_mul_f64 v[110:111], v[42:43], s[24:25]
	v_add_f64 v[94:95], v[96:97], v[94:95]
	v_fma_f64 v[96:97], v[44:45], s[14:15], -v[102:103]
	v_fmac_f64_e32 v[104:105], s[26:27], v[68:69]
	v_fma_f64 v[112:113], v[28:29], s[16:17], -v[110:111]
	v_add_f64 v[94:95], v[96:97], v[94:95]
	v_fmac_f64_e32 v[106:107], s[10:11], v[32:33]
	v_add_f64 v[96:97], v[0:1], v[104:105]
	v_add_f64 v[92:93], v[112:113], v[92:93]
	v_mul_f64 v[112:113], v[46:47], s[30:31]
	v_add_f64 v[96:97], v[106:107], v[96:97]
	v_fmac_f64_e32 v[108:109], s[20:21], v[30:31]
	v_fma_f64 v[114:115], v[36:37], s[14:15], -v[112:113]
	v_mul_f64 v[116:117], v[62:63], s[22:23]
	v_add_f64 v[96:97], v[108:109], v[96:97]
	v_fmac_f64_e32 v[110:111], s[16:17], v[28:29]
	v_add_f64 v[114:115], v[114:115], v[92:93]
	v_fma_f64 v[92:93], s[12:13], v[60:61], v[116:117]
	v_mul_f64 v[118:119], v[50:51], s[22:23]
	v_add_f64 v[96:97], v[110:111], v[96:97]
	v_fmac_f64_e32 v[112:113], s[14:15], v[36:37]
	v_add_f64 v[92:93], v[92:93], v[90:91]
	v_fma_f64 v[90:91], v[48:49], s[12:13], -v[118:119]
	v_add_f64 v[98:99], v[112:113], v[96:97]
	v_fma_f64 v[96:97], v[60:61], s[12:13], -v[116:117]
	v_fmac_f64_e32 v[118:119], s[12:13], v[48:49]
	v_mul_f64 v[102:103], v[82:83], s[30:31]
	v_add_f64 v[96:97], v[96:97], v[94:95]
	v_add_f64 v[94:95], v[118:119], v[98:99]
	v_fma_f64 v[98:99], s[14:15], v[66:67], v[102:103]
	v_mul_f64 v[104:105], v[80:81], s[28:29]
	v_add_f64 v[98:99], v[2:3], v[98:99]
	v_fma_f64 v[100:101], s[20:21], v[40:41], v[104:105]
	v_mul_f64 v[106:107], v[74:75], s[18:19]
	;; [unrolled: 3-line block ×5, first 2 shown]
	v_add_f64 v[90:91], v[90:91], v[114:115]
	v_add_f64 v[98:99], v[100:101], v[98:99]
	v_fma_f64 v[100:101], v[68:69], s[14:15], -v[112:113]
	v_mul_f64 v[114:115], v[76:77], s[28:29]
	v_fma_f64 v[102:103], v[66:67], s[14:15], -v[102:103]
	v_add_f64 v[100:101], v[0:1], v[100:101]
	v_fma_f64 v[116:117], v[32:33], s[20:21], -v[114:115]
	v_fma_f64 v[104:105], v[40:41], s[20:21], -v[104:105]
	v_add_f64 v[102:103], v[2:3], v[102:103]
	v_add_f64 v[100:101], v[116:117], v[100:101]
	v_mul_f64 v[116:117], v[70:71], s[18:19]
	v_add_f64 v[102:103], v[104:105], v[102:103]
	v_fma_f64 v[104:105], v[34:35], s[10:11], -v[106:107]
	v_fma_f64 v[118:119], v[30:31], s[10:11], -v[116:117]
	v_add_f64 v[102:103], v[104:105], v[102:103]
	v_fma_f64 v[104:105], v[38:39], s[12:13], -v[108:109]
	v_add_f64 v[100:101], v[118:119], v[100:101]
	v_mul_f64 v[118:119], v[42:43], s[40:41]
	v_add_f64 v[102:103], v[104:105], v[102:103]
	v_fma_f64 v[104:105], v[44:45], s[26:27], -v[110:111]
	v_fmac_f64_e32 v[112:113], s[14:15], v[68:69]
	v_fma_f64 v[120:121], v[28:29], s[12:13], -v[118:119]
	v_add_f64 v[102:103], v[104:105], v[102:103]
	v_fmac_f64_e32 v[114:115], s[20:21], v[32:33]
	v_add_f64 v[104:105], v[0:1], v[112:113]
	v_add_f64 v[100:101], v[120:121], v[100:101]
	v_mul_f64 v[120:121], v[46:47], s[34:35]
	v_add_f64 v[104:105], v[114:115], v[104:105]
	v_fmac_f64_e32 v[116:117], s[10:11], v[30:31]
	v_fma_f64 v[122:123], v[36:37], s[26:27], -v[120:121]
	v_mul_f64 v[124:125], v[62:63], s[24:25]
	v_add_f64 v[104:105], v[116:117], v[104:105]
	v_fmac_f64_e32 v[118:119], s[12:13], v[28:29]
	v_add_f64 v[122:123], v[122:123], v[100:101]
	v_fma_f64 v[100:101], s[16:17], v[60:61], v[124:125]
	v_mul_f64 v[126:127], v[50:51], s[24:25]
	v_add_f64 v[104:105], v[118:119], v[104:105]
	v_fmac_f64_e32 v[120:121], s[26:27], v[36:37]
	s_mov_b32 s25, 0xbfddbe06
	v_add_f64 v[100:101], v[100:101], v[98:99]
	v_fma_f64 v[98:99], v[48:49], s[16:17], -v[126:127]
	v_add_f64 v[106:107], v[120:121], v[104:105]
	v_fma_f64 v[104:105], v[60:61], s[16:17], -v[124:125]
	v_fmac_f64_e32 v[126:127], s[16:17], v[48:49]
	v_mul_f64 v[82:83], v[82:83], s[24:25]
	v_add_f64 v[104:105], v[104:105], v[102:103]
	v_add_f64 v[102:103], v[126:127], v[106:107]
	v_mul_f64 v[80:81], v[80:81], s[30:31]
	v_fma_f64 v[106:107], s[16:17], v[66:67], v[82:83]
	v_add_f64 v[106:107], v[2:3], v[106:107]
	v_fma_f64 v[108:109], s[14:15], v[40:41], v[80:81]
	v_mul_f64 v[74:75], v[74:75], s[36:37]
	v_add_f64 v[106:107], v[108:109], v[106:107]
	v_fma_f64 v[108:109], s[26:27], v[34:35], v[74:75]
	v_mul_f64 v[72:73], v[72:73], s[28:29]
	v_add_f64 v[106:107], v[108:109], v[106:107]
	v_fma_f64 v[108:109], s[20:21], v[38:39], v[72:73]
	v_add_f64 v[106:107], v[108:109], v[106:107]
	v_mul_f64 v[108:109], v[64:65], s[22:23]
	v_fma_f64 v[64:65], s[12:13], v[44:45], v[108:109]
	v_mul_f64 v[78:79], v[78:79], s[24:25]
	v_add_f64 v[64:65], v[64:65], v[106:107]
	v_mul_f64 v[76:77], v[76:77], s[30:31]
	v_fma_f64 v[106:107], v[68:69], s[16:17], -v[78:79]
	v_add_f64 v[106:107], v[0:1], v[106:107]
	v_fma_f64 v[110:111], v[32:33], s[14:15], -v[76:77]
	v_mul_f64 v[70:71], v[70:71], s[36:37]
	v_add_f64 v[106:107], v[110:111], v[106:107]
	v_fma_f64 v[110:111], v[30:31], s[26:27], -v[70:71]
	v_mul_f64 v[42:43], v[42:43], s[28:29]
	;; [unrolled: 3-line block ×3, first 2 shown]
	v_fma_f64 v[66:67], v[66:67], s[16:17], -v[82:83]
	v_fmac_f64_e32 v[78:79], s[16:17], v[68:69]
	v_add_f64 v[106:107], v[110:111], v[106:107]
	v_fma_f64 v[110:111], v[36:37], s[12:13], -v[46:47]
	v_add_f64 v[2:3], v[2:3], v[66:67]
	v_add_f64 v[0:1], v[0:1], v[78:79]
	v_fma_f64 v[40:41], v[40:41], s[14:15], -v[80:81]
	v_fmac_f64_e32 v[76:77], s[14:15], v[32:33]
	v_add_f64 v[106:107], v[110:111], v[106:107]
	v_mul_f64 v[110:111], v[62:63], s[18:19]
	v_fma_f64 v[34:35], v[34:35], s[26:27], -v[74:75]
	v_add_f64 v[2:3], v[40:41], v[2:3]
	v_fmac_f64_e32 v[70:71], s[26:27], v[30:31]
	v_add_f64 v[0:1], v[76:77], v[0:1]
	v_fma_f64 v[62:63], s[10:11], v[60:61], v[110:111]
	v_mul_f64 v[50:51], v[50:51], s[18:19]
	v_fma_f64 v[38:39], v[38:39], s[20:21], -v[72:73]
	v_add_f64 v[2:3], v[34:35], v[2:3]
	v_fmac_f64_e32 v[42:43], s[20:21], v[28:29]
	v_add_f64 v[0:1], v[70:71], v[0:1]
	v_add_f64 v[64:65], v[62:63], v[64:65]
	v_fma_f64 v[62:63], v[48:49], s[10:11], -v[50:51]
	v_fma_f64 v[60:61], v[60:61], s[10:11], -v[110:111]
	;; [unrolled: 1-line block ×3, first 2 shown]
	v_add_f64 v[2:3], v[38:39], v[2:3]
	v_fmac_f64_e32 v[50:51], s[10:11], v[48:49]
	v_fmac_f64_e32 v[46:47], s[12:13], v[36:37]
	v_add_f64 v[0:1], v[42:43], v[0:1]
	s_movk_i32 s10, 0xc0
	v_add_f64 v[2:3], v[44:45], v[2:3]
	v_add_f64 v[0:1], v[46:47], v[0:1]
	v_mad_u32_u24 v28, v56, s10, v84
	v_add_f64 v[98:99], v[98:99], v[122:123]
	v_add_f64 v[62:63], v[62:63], v[106:107]
	;; [unrolled: 1-line block ×4, first 2 shown]
	ds_write_b128 v28, v[4:7]
	ds_write_b128 v28, v[0:3] offset:16
	ds_write_b128 v28, v[102:105] offset:32
	;; [unrolled: 1-line block ×12, first 2 shown]
.LBB0_21:
	s_or_b64 exec, exec, s[4:5]
	s_movk_i32 s4, 0x4f
	v_add_u16_e32 v8, 52, v56
	v_mul_lo_u16_sdwa v0, v56, s4 dst_sel:DWORD dst_unused:UNUSED_PAD src0_sel:BYTE_0 src1_sel:DWORD
	v_mul_lo_u16_sdwa v9, v8, s4 dst_sel:DWORD dst_unused:UNUSED_PAD src0_sel:BYTE_0 src1_sel:DWORD
	v_lshrrev_b16_e32 v85, 10, v0
	v_lshrrev_b16_e32 v113, 10, v9
	v_mul_lo_u16_e32 v0, 13, v85
	v_mul_lo_u16_e32 v9, 13, v113
	v_sub_u16_e32 v112, v56, v0
	v_mov_b32_e32 v24, 3
	v_sub_u16_e32 v114, v8, v9
	v_mul_u32_u24_sdwa v0, v112, v24 dst_sel:DWORD dst_unused:UNUSED_PAD src0_sel:BYTE_0 src1_sel:DWORD
	v_mul_u32_u24_sdwa v8, v114, v24 dst_sel:DWORD dst_unused:UNUSED_PAD src0_sel:BYTE_0 src1_sel:DWORD
	v_lshlrev_b32_e32 v25, 4, v0
	v_lshlrev_b32_e32 v26, 4, v8
	s_waitcnt lgkmcnt(0)
	; wave barrier
	s_waitcnt lgkmcnt(0)
	global_load_dwordx4 v[0:3], v25, s[8:9] offset:16
	global_load_dwordx4 v[4:7], v25, s[8:9]
	global_load_dwordx4 v[8:11], v26, s[8:9] offset:32
	global_load_dwordx4 v[12:15], v26, s[8:9] offset:16
	;; [unrolled: 1-line block ×3, first 2 shown]
	global_load_dwordx4 v[20:23], v26, s[8:9]
	v_add_u16_e32 v25, 0x68, v56
	v_mul_lo_u16_sdwa v26, v25, s4 dst_sel:DWORD dst_unused:UNUSED_PAD src0_sel:BYTE_0 src1_sel:DWORD
	v_lshrrev_b16_e32 v115, 10, v26
	v_mul_lo_u16_e32 v26, 13, v115
	v_sub_u16_e32 v116, v25, v26
	v_mul_u32_u24_sdwa v24, v116, v24 dst_sel:DWORD dst_unused:UNUSED_PAD src0_sel:BYTE_0 src1_sel:DWORD
	v_lshlrev_b32_e32 v36, 4, v24
	global_load_dwordx4 v[24:27], v36, s[8:9]
	global_load_dwordx4 v[28:31], v36, s[8:9] offset:16
	global_load_dwordx4 v[32:35], v36, s[8:9] offset:32
	ds_read_b128 v[36:39], v84
	ds_read_b128 v[40:43], v84 offset:832
	ds_read_b128 v[44:47], v84 offset:4992
	;; [unrolled: 1-line block ×11, first 2 shown]
	s_waitcnt lgkmcnt(0)
	; wave barrier
	s_waitcnt lgkmcnt(0)
	s_mov_b32 s10, 0xe8584caa
	s_mov_b32 s11, 0xbfebb67a
	s_mov_b32 s5, 0x3febb67a
	s_mov_b32 s4, s10
	s_waitcnt vmcnt(6)
	v_mul_f64 v[104:105], v[88:89], v[10:11]
	v_mul_f64 v[96:97], v[46:47], v[2:3]
	;; [unrolled: 1-line block ×5, first 2 shown]
	s_waitcnt vmcnt(4)
	v_mul_f64 v[98:99], v[78:79], v[18:19]
	v_mul_f64 v[18:19], v[76:77], v[18:19]
	s_waitcnt vmcnt(3)
	v_mul_f64 v[100:101], v[70:71], v[22:23]
	v_mul_f64 v[22:23], v[68:69], v[22:23]
	;; [unrolled: 1-line block ×5, first 2 shown]
	v_fmac_f64_e32 v[94:95], v[60:61], v[4:5]
	v_fma_f64 v[4:5], v[62:63], v[4:5], -v[6:7]
	v_fmac_f64_e32 v[96:97], v[44:45], v[0:1]
	v_fma_f64 v[0:1], v[46:47], v[0:1], -v[2:3]
	v_fmac_f64_e32 v[98:99], v[76:77], v[16:17]
	v_fma_f64 v[2:3], v[78:79], v[16:17], -v[18:19]
	v_fmac_f64_e32 v[100:101], v[68:69], v[20:21]
	v_fma_f64 v[16:17], v[70:71], v[20:21], -v[22:23]
	v_fmac_f64_e32 v[102:103], v[48:49], v[12:13]
	v_fma_f64 v[18:19], v[50:51], v[12:13], -v[14:15]
	v_fmac_f64_e32 v[104:105], v[86:87], v[8:9]
	v_fma_f64 v[20:21], v[88:89], v[8:9], -v[10:11]
	v_add_f64 v[12:13], v[36:37], -v[96:97]
	v_add_f64 v[14:15], v[38:39], -v[0:1]
	;; [unrolled: 1-line block ×4, first 2 shown]
	s_waitcnt vmcnt(2)
	v_mul_f64 v[106:107], v[74:75], v[26:27]
	v_mul_f64 v[26:27], v[72:73], v[26:27]
	s_waitcnt vmcnt(1)
	v_mul_f64 v[108:109], v[82:83], v[30:31]
	v_mul_f64 v[30:31], v[80:81], v[30:31]
	;; [unrolled: 3-line block ×3, first 2 shown]
	v_fma_f64 v[6:7], v[36:37], 2.0, -v[12:13]
	v_fma_f64 v[22:23], v[38:39], 2.0, -v[14:15]
	;; [unrolled: 1-line block ×4, first 2 shown]
	v_fma_f64 v[44:45], v[74:75], v[24:25], -v[26:27]
	v_fmac_f64_e32 v[108:109], v[80:81], v[28:29]
	v_fma_f64 v[46:47], v[82:83], v[28:29], -v[30:31]
	v_fmac_f64_e32 v[110:111], v[90:91], v[32:33]
	v_fma_f64 v[32:33], v[92:93], v[32:33], -v[34:35]
	v_add_f64 v[0:1], v[6:7], -v[0:1]
	v_add_f64 v[2:3], v[22:23], -v[2:3]
	;; [unrolled: 1-line block ×6, first 2 shown]
	v_fmac_f64_e32 v[106:107], v[72:73], v[24:25]
	v_fma_f64 v[4:5], v[6:7], 2.0, -v[0:1]
	v_fma_f64 v[6:7], v[22:23], 2.0, -v[2:3]
	;; [unrolled: 1-line block ×6, first 2 shown]
	v_add_f64 v[16:17], v[22:23], -v[18:19]
	v_add_f64 v[18:19], v[24:25], -v[20:21]
	v_add_f64 v[48:49], v[64:65], -v[108:109]
	v_add_f64 v[40:41], v[44:45], -v[32:33]
	v_fma_f64 v[20:21], v[22:23], 2.0, -v[16:17]
	v_fma_f64 v[22:23], v[24:25], 2.0, -v[18:19]
	v_add_f64 v[24:25], v[28:29], v[34:35]
	v_fma_f64 v[34:35], v[44:45], 2.0, -v[40:41]
	v_add_f64 v[40:41], v[48:49], v[40:41]
	v_fma_f64 v[36:37], v[64:65], 2.0, -v[48:49]
	v_fma_f64 v[44:45], v[48:49], 2.0, -v[40:41]
	v_mov_b32_e32 v49, 4
	v_mul_u32_u24_e32 v48, 0x340, v85
	v_lshlrev_b32_sdwa v50, v49, v112 dst_sel:DWORD dst_unused:UNUSED_PAD src0_sel:DWORD src1_sel:BYTE_0
	v_add_f64 v[8:9], v[12:13], v[8:9]
	v_add_f64 v[10:11], v[14:15], -v[10:11]
	v_add3_u32 v48, 0, v48, v50
	v_fma_f64 v[12:13], v[12:13], 2.0, -v[8:9]
	v_fma_f64 v[14:15], v[14:15], 2.0, -v[10:11]
	v_add_f64 v[46:47], v[66:67], -v[46:47]
	v_add_f64 v[42:43], v[106:107], -v[110:111]
	ds_write_b128 v48, v[4:7]
	ds_write_b128 v48, v[12:15] offset:208
	ds_write_b128 v48, v[0:3] offset:416
	;; [unrolled: 1-line block ×3, first 2 shown]
	v_mul_u32_u24_e32 v0, 0x340, v113
	v_lshlrev_b32_sdwa v1, v49, v114 dst_sel:DWORD dst_unused:UNUSED_PAD src0_sel:DWORD src1_sel:BYTE_0
	v_add_f64 v[26:27], v[30:31], -v[26:27]
	v_fma_f64 v[38:39], v[66:67], 2.0, -v[46:47]
	v_fma_f64 v[32:33], v[106:107], 2.0, -v[42:43]
	v_add3_u32 v0, 0, v0, v1
	v_fma_f64 v[28:29], v[28:29], 2.0, -v[24:25]
	v_fma_f64 v[30:31], v[30:31], 2.0, -v[26:27]
	v_add_f64 v[32:33], v[36:37], -v[32:33]
	v_add_f64 v[34:35], v[38:39], -v[34:35]
	ds_write_b128 v0, v[20:23]
	ds_write_b128 v0, v[28:31] offset:208
	ds_write_b128 v0, v[16:19] offset:416
	;; [unrolled: 1-line block ×3, first 2 shown]
	v_mul_u32_u24_e32 v0, 0x340, v115
	v_lshlrev_b32_sdwa v1, v49, v116 dst_sel:DWORD dst_unused:UNUSED_PAD src0_sel:DWORD src1_sel:BYTE_0
	v_fma_f64 v[36:37], v[36:37], 2.0, -v[32:33]
	v_fma_f64 v[38:39], v[38:39], 2.0, -v[34:35]
	v_add_f64 v[42:43], v[46:47], -v[42:43]
	v_add3_u32 v0, 0, v0, v1
	v_fma_f64 v[46:47], v[46:47], 2.0, -v[42:43]
	ds_write_b128 v0, v[36:39]
	ds_write_b128 v0, v[44:47] offset:208
	ds_write_b128 v0, v[32:35] offset:416
	;; [unrolled: 1-line block ×3, first 2 shown]
	v_mul_u32_u24_e32 v0, 5, v56
	v_lshlrev_b32_e32 v20, 4, v0
	s_waitcnt lgkmcnt(0)
	; wave barrier
	s_waitcnt lgkmcnt(0)
	global_load_dwordx4 v[0:3], v20, s[8:9] offset:624
	global_load_dwordx4 v[4:7], v20, s[8:9] offset:640
	;; [unrolled: 1-line block ×5, first 2 shown]
	ds_read_b128 v[20:23], v84
	ds_read_b128 v[24:27], v84 offset:832
	ds_read_b128 v[28:31], v84 offset:1664
	;; [unrolled: 1-line block ×11, first 2 shown]
	s_waitcnt lgkmcnt(0)
	; wave barrier
	s_waitcnt vmcnt(4) lgkmcnt(0)
	v_mul_f64 v[76:77], v[30:31], v[2:3]
	v_fmac_f64_e32 v[76:77], v[28:29], v[0:1]
	v_mul_f64 v[28:29], v[28:29], v[2:3]
	v_fma_f64 v[28:29], v[30:31], v[0:1], -v[28:29]
	s_waitcnt vmcnt(3)
	v_mul_f64 v[30:31], v[38:39], v[6:7]
	v_fmac_f64_e32 v[30:31], v[36:37], v[4:5]
	v_mul_f64 v[36:37], v[36:37], v[6:7]
	v_fma_f64 v[36:37], v[38:39], v[4:5], -v[36:37]
	s_waitcnt vmcnt(2)
	;; [unrolled: 5-line block ×4, first 2 shown]
	v_mul_f64 v[62:63], v[70:71], v[18:19]
	v_fmac_f64_e32 v[62:63], v[68:69], v[16:17]
	v_mul_f64 v[68:69], v[68:69], v[18:19]
	v_fma_f64 v[68:69], v[70:71], v[16:17], -v[68:69]
	v_mul_f64 v[70:71], v[34:35], v[2:3]
	v_mul_f64 v[2:3], v[32:33], v[2:3]
	v_fmac_f64_e32 v[70:71], v[32:33], v[0:1]
	v_fma_f64 v[78:79], v[34:35], v[0:1], -v[2:3]
	v_mul_f64 v[0:1], v[40:41], v[6:7]
	v_fma_f64 v[34:35], v[42:43], v[4:5], -v[0:1]
	v_mul_f64 v[0:1], v[48:49], v[10:11]
	v_mul_f64 v[32:33], v[42:43], v[6:7]
	v_fma_f64 v[42:43], v[50:51], v[8:9], -v[0:1]
	v_mul_f64 v[0:1], v[64:65], v[14:15]
	v_fmac_f64_e32 v[32:33], v[40:41], v[4:5]
	v_mul_f64 v[40:41], v[50:51], v[10:11]
	v_fma_f64 v[50:51], v[66:67], v[12:13], -v[0:1]
	v_mul_f64 v[0:1], v[72:73], v[18:19]
	v_fmac_f64_e32 v[40:41], v[48:49], v[8:9]
	v_mul_f64 v[48:49], v[66:67], v[14:15]
	v_fma_f64 v[66:67], v[74:75], v[16:17], -v[0:1]
	v_add_f64 v[0:1], v[20:21], v[30:31]
	v_fmac_f64_e32 v[48:49], v[64:65], v[12:13]
	v_add_f64 v[12:13], v[0:1], v[46:47]
	v_add_f64 v[0:1], v[30:31], v[46:47]
	v_fmac_f64_e32 v[20:21], -0.5, v[0:1]
	v_add_f64 v[0:1], v[36:37], -v[60:61]
	v_fma_f64 v[14:15], s[10:11], v[0:1], v[20:21]
	v_fmac_f64_e32 v[20:21], s[4:5], v[0:1]
	v_add_f64 v[0:1], v[22:23], v[36:37]
	v_mul_f64 v[64:65], v[74:75], v[18:19]
	v_add_f64 v[18:19], v[0:1], v[60:61]
	v_add_f64 v[0:1], v[36:37], v[60:61]
	v_fmac_f64_e32 v[22:23], -0.5, v[0:1]
	v_add_f64 v[0:1], v[30:31], -v[46:47]
	v_fma_f64 v[30:31], s[4:5], v[0:1], v[22:23]
	v_fmac_f64_e32 v[22:23], s[10:11], v[0:1]
	v_add_f64 v[0:1], v[76:77], v[38:39]
	v_fmac_f64_e32 v[64:65], v[72:73], v[16:17]
	v_add_f64 v[16:17], v[0:1], v[62:63]
	v_add_f64 v[0:1], v[38:39], v[62:63]
	v_fmac_f64_e32 v[76:77], -0.5, v[0:1]
	v_add_f64 v[0:1], v[44:45], -v[68:69]
	v_fma_f64 v[6:7], s[10:11], v[0:1], v[76:77]
	v_fmac_f64_e32 v[76:77], s[4:5], v[0:1]
	v_add_f64 v[0:1], v[28:29], v[44:45]
	v_add_f64 v[36:37], v[0:1], v[68:69]
	;; [unrolled: 1-line block ×3, first 2 shown]
	v_fmac_f64_e32 v[28:29], -0.5, v[0:1]
	v_add_f64 v[0:1], v[38:39], -v[62:63]
	v_fma_f64 v[10:11], s[4:5], v[0:1], v[28:29]
	v_fmac_f64_e32 v[28:29], s[10:11], v[0:1]
	v_mul_f64 v[44:45], v[28:29], s[10:11]
	v_mul_f64 v[28:29], v[28:29], -0.5
	v_fmac_f64_e32 v[28:29], s[4:5], v[76:77]
	v_mul_f64 v[38:39], v[10:11], s[10:11]
	v_fmac_f64_e32 v[44:45], -0.5, v[76:77]
	v_mul_f64 v[46:47], v[10:11], 0.5
	v_add_f64 v[10:11], v[22:23], v[28:29]
	v_add_f64 v[22:23], v[22:23], -v[28:29]
	v_add_f64 v[28:29], v[24:25], v[32:33]
	v_add_f64 v[8:9], v[20:21], v[44:45]
	v_add_f64 v[20:21], v[20:21], -v[44:45]
	v_add_f64 v[44:45], v[28:29], v[48:49]
	v_add_f64 v[28:29], v[32:33], v[48:49]
	v_fmac_f64_e32 v[38:39], 0.5, v[6:7]
	v_fmac_f64_e32 v[46:47], s[4:5], v[6:7]
	v_fmac_f64_e32 v[24:25], -0.5, v[28:29]
	v_add_f64 v[28:29], v[34:35], -v[50:51]
	v_add_f64 v[0:1], v[12:13], v[16:17]
	v_add_f64 v[4:5], v[14:15], v[38:39]
	;; [unrolled: 1-line block ×4, first 2 shown]
	v_add_f64 v[12:13], v[12:13], -v[16:17]
	v_add_f64 v[16:17], v[14:15], -v[38:39]
	;; [unrolled: 1-line block ×4, first 2 shown]
	v_fma_f64 v[46:47], s[10:11], v[28:29], v[24:25]
	v_fmac_f64_e32 v[24:25], s[4:5], v[28:29]
	v_add_f64 v[28:29], v[26:27], v[34:35]
	v_add_f64 v[60:61], v[28:29], v[50:51]
	v_add_f64 v[28:29], v[34:35], v[50:51]
	v_fmac_f64_e32 v[26:27], -0.5, v[28:29]
	v_add_f64 v[28:29], v[32:33], -v[48:49]
	v_fma_f64 v[48:49], s[4:5], v[28:29], v[26:27]
	v_fmac_f64_e32 v[26:27], s[10:11], v[28:29]
	v_add_f64 v[28:29], v[70:71], v[40:41]
	v_add_f64 v[50:51], v[28:29], v[64:65]
	v_add_f64 v[28:29], v[40:41], v[64:65]
	v_fmac_f64_e32 v[70:71], -0.5, v[28:29]
	v_add_f64 v[28:29], v[42:43], -v[66:67]
	;; [unrolled: 7-line block ×3, first 2 shown]
	v_fma_f64 v[38:39], s[4:5], v[28:29], v[78:79]
	v_fmac_f64_e32 v[78:79], s[10:11], v[28:29]
	v_mul_f64 v[42:43], v[38:39], s[10:11]
	v_mul_f64 v[64:65], v[78:79], s[10:11]
	v_mul_f64 v[66:67], v[38:39], 0.5
	v_mul_f64 v[68:69], v[78:79], -0.5
	v_fmac_f64_e32 v[42:43], 0.5, v[34:35]
	v_fmac_f64_e32 v[64:65], -0.5, v[70:71]
	v_fmac_f64_e32 v[66:67], s[4:5], v[34:35]
	v_fmac_f64_e32 v[68:69], s[4:5], v[70:71]
	v_add_f64 v[28:29], v[44:45], v[50:51]
	v_add_f64 v[32:33], v[46:47], v[42:43]
	;; [unrolled: 1-line block ×6, first 2 shown]
	v_add_f64 v[40:41], v[44:45], -v[50:51]
	v_add_f64 v[44:45], v[46:47], -v[42:43]
	;; [unrolled: 1-line block ×6, first 2 shown]
	ds_write_b128 v84, v[0:3]
	ds_write_b128 v84, v[4:7] offset:832
	ds_write_b128 v84, v[8:11] offset:1664
	;; [unrolled: 1-line block ×11, first 2 shown]
	v_lshl_add_u64 v[0:1], v[58:59], 4, s[8:9]
	v_add_co_u32_e32 v0, vcc, s33, v0
	s_waitcnt lgkmcnt(0)
	s_nop 0
	v_addc_co_u32_e32 v1, vcc, 0, v1, vcc
	; wave barrier
	global_load_dwordx4 v[0:3], v[0:1], off offset:688
	v_lshl_add_u64 v[20:21], v[56:57], 4, s[8:9]
	v_add_co_u32_e32 v22, vcc, s33, v20
	s_movk_i32 s4, 0x2000
	s_nop 0
	v_addc_co_u32_e32 v23, vcc, 0, v21, vcc
	v_add_co_u32_e32 v20, vcc, s4, v20
	global_load_dwordx4 v[4:7], v[22:23], off offset:1520
	global_load_dwordx4 v[8:11], v[22:23], off offset:2352
	;; [unrolled: 1-line block ×4, first 2 shown]
	v_addc_co_u32_e32 v21, vcc, 0, v21, vcc
	global_load_dwordx4 v[20:23], v[20:21], off offset:752
	ds_read_b128 v[24:27], v84
	ds_read_b128 v[28:31], v84 offset:832
	ds_read_b128 v[32:35], v84 offset:4992
	;; [unrolled: 1-line block ×11, first 2 shown]
	s_waitcnt lgkmcnt(0)
	; wave barrier
	s_waitcnt vmcnt(5) lgkmcnt(0)
	v_mul_f64 v[78:79], v[34:35], v[2:3]
	v_mul_f64 v[2:3], v[32:33], v[2:3]
	v_fmac_f64_e32 v[78:79], v[32:33], v[0:1]
	v_fma_f64 v[2:3], v[34:35], v[0:1], -v[2:3]
	v_add_f64 v[2:3], v[26:27], -v[2:3]
	s_waitcnt vmcnt(4)
	v_mul_f64 v[32:33], v[38:39], v[6:7]
	v_mul_f64 v[0:1], v[36:37], v[6:7]
	v_fmac_f64_e32 v[32:33], v[36:37], v[4:5]
	v_fma_f64 v[34:35], v[38:39], v[4:5], -v[0:1]
	s_waitcnt vmcnt(3)
	v_mul_f64 v[36:37], v[50:51], v[10:11]
	v_mul_f64 v[0:1], v[48:49], v[10:11]
	v_fmac_f64_e32 v[36:37], v[48:49], v[8:9]
	v_fma_f64 v[38:39], v[50:51], v[8:9], -v[0:1]
	;; [unrolled: 5-line block ×5, first 2 shown]
	v_add_f64 v[0:1], v[24:25], -v[78:79]
	v_add_f64 v[16:17], v[40:41], -v[36:37]
	;; [unrolled: 1-line block ×3, first 2 shown]
	v_fma_f64 v[4:5], v[24:25], 2.0, -v[0:1]
	v_fma_f64 v[6:7], v[26:27], 2.0, -v[2:3]
	v_add_f64 v[8:9], v[28:29], -v[32:33]
	v_add_f64 v[10:11], v[30:31], -v[34:35]
	v_fma_f64 v[20:21], v[40:41], 2.0, -v[16:17]
	v_fma_f64 v[22:23], v[42:43], 2.0, -v[18:19]
	v_add_f64 v[24:25], v[44:45], -v[48:49]
	v_add_f64 v[26:27], v[46:47], -v[50:51]
	;; [unrolled: 1-line block ×6, first 2 shown]
	v_fma_f64 v[12:13], v[28:29], 2.0, -v[8:9]
	v_fma_f64 v[14:15], v[30:31], 2.0, -v[10:11]
	;; [unrolled: 1-line block ×8, first 2 shown]
	ds_write_b128 v84, v[4:7]
	ds_write_b128 v84, v[0:3] offset:4992
	ds_write_b128 v84, v[12:15] offset:832
	;; [unrolled: 1-line block ×11, first 2 shown]
	s_waitcnt lgkmcnt(0)
	; wave barrier
	s_waitcnt lgkmcnt(0)
	s_and_saveexec_b64 s[4:5], s[0:1]
	s_cbranch_execz .LBB0_23
; %bb.22:
	v_mul_lo_u32 v0, s3, v54
	v_mul_lo_u32 v1, s2, v55
	v_mad_u64_u32 v[4:5], s[0:1], s2, v54, 0
	v_lshl_add_u32 v12, v56, 4, 0
	v_add3_u32 v5, v5, v1, v0
	ds_read_b128 v[0:3], v12
	v_lshl_add_u64 v[4:5], v[4:5], 4, s[6:7]
	v_lshl_add_u64 v[8:9], v[52:53], 4, v[4:5]
	ds_read_b128 v[4:7], v12 offset:832
	v_mov_b32_e32 v57, 0
	v_lshl_add_u64 v[10:11], v[56:57], 4, v[8:9]
	s_waitcnt lgkmcnt(1)
	global_store_dwordx4 v[10:11], v[0:3], off
	s_nop 1
	v_add_u32_e32 v0, 52, v56
	v_mov_b32_e32 v1, v57
	v_lshl_add_u64 v[0:1], v[0:1], 4, v[8:9]
	s_waitcnt lgkmcnt(0)
	global_store_dwordx4 v[0:1], v[4:7], off
	ds_read_b128 v[0:3], v12 offset:1664
	s_nop 0
	v_add_u32_e32 v4, 0x68, v56
	v_mov_b32_e32 v5, v57
	v_lshl_add_u64 v[10:11], v[4:5], 4, v[8:9]
	ds_read_b128 v[4:7], v12 offset:2496
	s_waitcnt lgkmcnt(1)
	global_store_dwordx4 v[10:11], v[0:3], off
	s_nop 1
	v_add_u32_e32 v0, 0x9c, v56
	v_mov_b32_e32 v1, v57
	v_lshl_add_u64 v[0:1], v[0:1], 4, v[8:9]
	s_waitcnt lgkmcnt(0)
	global_store_dwordx4 v[0:1], v[4:7], off
	ds_read_b128 v[0:3], v12 offset:3328
	s_nop 0
	v_add_u32_e32 v4, 0xd0, v56
	v_mov_b32_e32 v5, v57
	v_lshl_add_u64 v[10:11], v[4:5], 4, v[8:9]
	ds_read_b128 v[4:7], v12 offset:4160
	;; [unrolled: 14-line block ×4, first 2 shown]
	s_waitcnt lgkmcnt(1)
	global_store_dwordx4 v[10:11], v[0:3], off
	v_add_u32_e32 v10, 0x208, v56
	v_mov_b32_e32 v11, v57
	v_add_u32_e32 v0, 0x1d4, v56
	v_mov_b32_e32 v1, v57
	v_lshl_add_u64 v[0:1], v[0:1], 4, v[8:9]
	s_waitcnt lgkmcnt(0)
	global_store_dwordx4 v[0:1], v[4:7], off
	ds_read_b128 v[0:3], v12 offset:8320
	ds_read_b128 v[4:7], v12 offset:9152
	v_lshl_add_u64 v[10:11], v[10:11], 4, v[8:9]
	v_add_u32_e32 v56, 0x23c, v56
	s_waitcnt lgkmcnt(1)
	global_store_dwordx4 v[10:11], v[0:3], off
	s_nop 1
	v_lshl_add_u64 v[0:1], v[56:57], 4, v[8:9]
	s_waitcnt lgkmcnt(0)
	global_store_dwordx4 v[0:1], v[4:7], off
.LBB0_23:
	s_endpgm
	.section	.rodata,"a",@progbits
	.p2align	6, 0x0
	.amdhsa_kernel fft_rtc_back_len624_factors_13_4_6_2_wgs_52_tpt_52_dp_op_CI_CI_unitstride_sbrr_C2R_dirReg
		.amdhsa_group_segment_fixed_size 0
		.amdhsa_private_segment_fixed_size 0
		.amdhsa_kernarg_size 104
		.amdhsa_user_sgpr_count 2
		.amdhsa_user_sgpr_dispatch_ptr 0
		.amdhsa_user_sgpr_queue_ptr 0
		.amdhsa_user_sgpr_kernarg_segment_ptr 1
		.amdhsa_user_sgpr_dispatch_id 0
		.amdhsa_user_sgpr_kernarg_preload_length 0
		.amdhsa_user_sgpr_kernarg_preload_offset 0
		.amdhsa_user_sgpr_private_segment_size 0
		.amdhsa_uses_dynamic_stack 0
		.amdhsa_enable_private_segment 0
		.amdhsa_system_sgpr_workgroup_id_x 1
		.amdhsa_system_sgpr_workgroup_id_y 0
		.amdhsa_system_sgpr_workgroup_id_z 0
		.amdhsa_system_sgpr_workgroup_info 0
		.amdhsa_system_vgpr_workitem_id 0
		.amdhsa_next_free_vgpr 128
		.amdhsa_next_free_sgpr 44
		.amdhsa_accum_offset 128
		.amdhsa_reserve_vcc 1
		.amdhsa_float_round_mode_32 0
		.amdhsa_float_round_mode_16_64 0
		.amdhsa_float_denorm_mode_32 3
		.amdhsa_float_denorm_mode_16_64 3
		.amdhsa_dx10_clamp 1
		.amdhsa_ieee_mode 1
		.amdhsa_fp16_overflow 0
		.amdhsa_tg_split 0
		.amdhsa_exception_fp_ieee_invalid_op 0
		.amdhsa_exception_fp_denorm_src 0
		.amdhsa_exception_fp_ieee_div_zero 0
		.amdhsa_exception_fp_ieee_overflow 0
		.amdhsa_exception_fp_ieee_underflow 0
		.amdhsa_exception_fp_ieee_inexact 0
		.amdhsa_exception_int_div_zero 0
	.end_amdhsa_kernel
	.text
.Lfunc_end0:
	.size	fft_rtc_back_len624_factors_13_4_6_2_wgs_52_tpt_52_dp_op_CI_CI_unitstride_sbrr_C2R_dirReg, .Lfunc_end0-fft_rtc_back_len624_factors_13_4_6_2_wgs_52_tpt_52_dp_op_CI_CI_unitstride_sbrr_C2R_dirReg
                                        ; -- End function
	.section	.AMDGPU.csdata,"",@progbits
; Kernel info:
; codeLenInByte = 9944
; NumSgprs: 50
; NumVgprs: 128
; NumAgprs: 0
; TotalNumVgprs: 128
; ScratchSize: 0
; MemoryBound: 0
; FloatMode: 240
; IeeeMode: 1
; LDSByteSize: 0 bytes/workgroup (compile time only)
; SGPRBlocks: 6
; VGPRBlocks: 15
; NumSGPRsForWavesPerEU: 50
; NumVGPRsForWavesPerEU: 128
; AccumOffset: 128
; Occupancy: 4
; WaveLimiterHint : 1
; COMPUTE_PGM_RSRC2:SCRATCH_EN: 0
; COMPUTE_PGM_RSRC2:USER_SGPR: 2
; COMPUTE_PGM_RSRC2:TRAP_HANDLER: 0
; COMPUTE_PGM_RSRC2:TGID_X_EN: 1
; COMPUTE_PGM_RSRC2:TGID_Y_EN: 0
; COMPUTE_PGM_RSRC2:TGID_Z_EN: 0
; COMPUTE_PGM_RSRC2:TIDIG_COMP_CNT: 0
; COMPUTE_PGM_RSRC3_GFX90A:ACCUM_OFFSET: 31
; COMPUTE_PGM_RSRC3_GFX90A:TG_SPLIT: 0
	.text
	.p2alignl 6, 3212836864
	.fill 256, 4, 3212836864
	.type	__hip_cuid_56627f2b8da7049a,@object ; @__hip_cuid_56627f2b8da7049a
	.section	.bss,"aw",@nobits
	.globl	__hip_cuid_56627f2b8da7049a
__hip_cuid_56627f2b8da7049a:
	.byte	0                               ; 0x0
	.size	__hip_cuid_56627f2b8da7049a, 1

	.ident	"AMD clang version 19.0.0git (https://github.com/RadeonOpenCompute/llvm-project roc-6.4.0 25133 c7fe45cf4b819c5991fe208aaa96edf142730f1d)"
	.section	".note.GNU-stack","",@progbits
	.addrsig
	.addrsig_sym __hip_cuid_56627f2b8da7049a
	.amdgpu_metadata
---
amdhsa.kernels:
  - .agpr_count:     0
    .args:
      - .actual_access:  read_only
        .address_space:  global
        .offset:         0
        .size:           8
        .value_kind:     global_buffer
      - .offset:         8
        .size:           8
        .value_kind:     by_value
      - .actual_access:  read_only
        .address_space:  global
        .offset:         16
        .size:           8
        .value_kind:     global_buffer
      - .actual_access:  read_only
        .address_space:  global
        .offset:         24
        .size:           8
        .value_kind:     global_buffer
      - .actual_access:  read_only
        .address_space:  global
        .offset:         32
        .size:           8
        .value_kind:     global_buffer
      - .offset:         40
        .size:           8
        .value_kind:     by_value
      - .actual_access:  read_only
        .address_space:  global
        .offset:         48
        .size:           8
        .value_kind:     global_buffer
      - .actual_access:  read_only
        .address_space:  global
        .offset:         56
        .size:           8
        .value_kind:     global_buffer
      - .offset:         64
        .size:           4
        .value_kind:     by_value
      - .actual_access:  read_only
        .address_space:  global
        .offset:         72
        .size:           8
        .value_kind:     global_buffer
      - .actual_access:  read_only
        .address_space:  global
        .offset:         80
        .size:           8
        .value_kind:     global_buffer
      - .actual_access:  read_only
        .address_space:  global
        .offset:         88
        .size:           8
        .value_kind:     global_buffer
      - .actual_access:  write_only
        .address_space:  global
        .offset:         96
        .size:           8
        .value_kind:     global_buffer
    .group_segment_fixed_size: 0
    .kernarg_segment_align: 8
    .kernarg_segment_size: 104
    .language:       OpenCL C
    .language_version:
      - 2
      - 0
    .max_flat_workgroup_size: 52
    .name:           fft_rtc_back_len624_factors_13_4_6_2_wgs_52_tpt_52_dp_op_CI_CI_unitstride_sbrr_C2R_dirReg
    .private_segment_fixed_size: 0
    .sgpr_count:     50
    .sgpr_spill_count: 0
    .symbol:         fft_rtc_back_len624_factors_13_4_6_2_wgs_52_tpt_52_dp_op_CI_CI_unitstride_sbrr_C2R_dirReg.kd
    .uniform_work_group_size: 1
    .uses_dynamic_stack: false
    .vgpr_count:     128
    .vgpr_spill_count: 0
    .wavefront_size: 64
amdhsa.target:   amdgcn-amd-amdhsa--gfx950
amdhsa.version:
  - 1
  - 2
...

	.end_amdgpu_metadata
